;; amdgpu-corpus repo=ROCm/rocFFT kind=compiled arch=gfx906 opt=O3
	.text
	.amdgcn_target "amdgcn-amd-amdhsa--gfx906"
	.amdhsa_code_object_version 6
	.protected	fft_rtc_back_len182_factors_13_2_7_wgs_52_tpt_13_sp_ip_CI_unitstride_sbrr_C2R_dirReg ; -- Begin function fft_rtc_back_len182_factors_13_2_7_wgs_52_tpt_13_sp_ip_CI_unitstride_sbrr_C2R_dirReg
	.globl	fft_rtc_back_len182_factors_13_2_7_wgs_52_tpt_13_sp_ip_CI_unitstride_sbrr_C2R_dirReg
	.p2align	8
	.type	fft_rtc_back_len182_factors_13_2_7_wgs_52_tpt_13_sp_ip_CI_unitstride_sbrr_C2R_dirReg,@function
fft_rtc_back_len182_factors_13_2_7_wgs_52_tpt_13_sp_ip_CI_unitstride_sbrr_C2R_dirReg: ; @fft_rtc_back_len182_factors_13_2_7_wgs_52_tpt_13_sp_ip_CI_unitstride_sbrr_C2R_dirReg
; %bb.0:
	s_load_dwordx2 s[12:13], s[4:5], 0x50
	s_load_dwordx4 s[8:11], s[4:5], 0x0
	s_load_dwordx2 s[2:3], s[4:5], 0x18
	v_mul_u32_u24_e32 v1, 0x13b2, v0
	v_lshrrev_b32_e32 v9, 16, v1
	v_mov_b32_e32 v3, 0
	s_waitcnt lgkmcnt(0)
	v_cmp_lt_u64_e64 s[0:1], s[10:11], 2
	v_mov_b32_e32 v1, 0
	v_lshl_add_u32 v5, s6, 2, v9
	v_mov_b32_e32 v6, v3
	s_and_b64 vcc, exec, s[0:1]
	v_mov_b32_e32 v2, 0
	s_cbranch_vccnz .LBB0_8
; %bb.1:
	s_load_dwordx2 s[0:1], s[4:5], 0x10
	s_add_u32 s6, s2, 8
	s_addc_u32 s7, s3, 0
	v_mov_b32_e32 v1, 0
	v_mov_b32_e32 v2, 0
	s_waitcnt lgkmcnt(0)
	s_add_u32 s14, s0, 8
	s_addc_u32 s15, s1, 0
	s_mov_b64 s[16:17], 1
.LBB0_2:                                ; =>This Inner Loop Header: Depth=1
	s_load_dwordx2 s[18:19], s[14:15], 0x0
                                        ; implicit-def: $vgpr7_vgpr8
	s_waitcnt lgkmcnt(0)
	v_or_b32_e32 v4, s19, v6
	v_cmp_ne_u64_e32 vcc, 0, v[3:4]
	s_and_saveexec_b64 s[0:1], vcc
	s_xor_b64 s[20:21], exec, s[0:1]
	s_cbranch_execz .LBB0_4
; %bb.3:                                ;   in Loop: Header=BB0_2 Depth=1
	v_cvt_f32_u32_e32 v4, s18
	v_cvt_f32_u32_e32 v7, s19
	s_sub_u32 s0, 0, s18
	s_subb_u32 s1, 0, s19
	v_mac_f32_e32 v4, 0x4f800000, v7
	v_rcp_f32_e32 v4, v4
	v_mul_f32_e32 v4, 0x5f7ffffc, v4
	v_mul_f32_e32 v7, 0x2f800000, v4
	v_trunc_f32_e32 v7, v7
	v_mac_f32_e32 v4, 0xcf800000, v7
	v_cvt_u32_f32_e32 v7, v7
	v_cvt_u32_f32_e32 v4, v4
	v_mul_lo_u32 v8, s0, v7
	v_mul_hi_u32 v10, s0, v4
	v_mul_lo_u32 v12, s1, v4
	v_mul_lo_u32 v11, s0, v4
	v_add_u32_e32 v8, v10, v8
	v_add_u32_e32 v8, v8, v12
	v_mul_hi_u32 v10, v4, v11
	v_mul_lo_u32 v12, v4, v8
	v_mul_hi_u32 v14, v4, v8
	v_mul_hi_u32 v13, v7, v11
	v_mul_lo_u32 v11, v7, v11
	v_mul_hi_u32 v15, v7, v8
	v_add_co_u32_e32 v10, vcc, v10, v12
	v_addc_co_u32_e32 v12, vcc, 0, v14, vcc
	v_mul_lo_u32 v8, v7, v8
	v_add_co_u32_e32 v10, vcc, v10, v11
	v_addc_co_u32_e32 v10, vcc, v12, v13, vcc
	v_addc_co_u32_e32 v11, vcc, 0, v15, vcc
	v_add_co_u32_e32 v8, vcc, v10, v8
	v_addc_co_u32_e32 v10, vcc, 0, v11, vcc
	v_add_co_u32_e32 v4, vcc, v4, v8
	v_addc_co_u32_e32 v7, vcc, v7, v10, vcc
	v_mul_lo_u32 v8, s0, v7
	v_mul_hi_u32 v10, s0, v4
	v_mul_lo_u32 v11, s1, v4
	v_mul_lo_u32 v12, s0, v4
	v_add_u32_e32 v8, v10, v8
	v_add_u32_e32 v8, v8, v11
	v_mul_lo_u32 v13, v4, v8
	v_mul_hi_u32 v14, v4, v12
	v_mul_hi_u32 v15, v4, v8
	;; [unrolled: 1-line block ×3, first 2 shown]
	v_mul_lo_u32 v12, v7, v12
	v_mul_hi_u32 v10, v7, v8
	v_add_co_u32_e32 v13, vcc, v14, v13
	v_addc_co_u32_e32 v14, vcc, 0, v15, vcc
	v_mul_lo_u32 v8, v7, v8
	v_add_co_u32_e32 v12, vcc, v13, v12
	v_addc_co_u32_e32 v11, vcc, v14, v11, vcc
	v_addc_co_u32_e32 v10, vcc, 0, v10, vcc
	v_add_co_u32_e32 v8, vcc, v11, v8
	v_addc_co_u32_e32 v10, vcc, 0, v10, vcc
	v_add_co_u32_e32 v4, vcc, v4, v8
	v_addc_co_u32_e32 v10, vcc, v7, v10, vcc
	v_mad_u64_u32 v[7:8], s[0:1], v5, v10, 0
	v_mul_hi_u32 v11, v5, v4
	v_add_co_u32_e32 v12, vcc, v11, v7
	v_addc_co_u32_e32 v13, vcc, 0, v8, vcc
	v_mad_u64_u32 v[7:8], s[0:1], v6, v4, 0
	v_mad_u64_u32 v[10:11], s[0:1], v6, v10, 0
	v_add_co_u32_e32 v4, vcc, v12, v7
	v_addc_co_u32_e32 v4, vcc, v13, v8, vcc
	v_addc_co_u32_e32 v7, vcc, 0, v11, vcc
	v_add_co_u32_e32 v4, vcc, v4, v10
	v_addc_co_u32_e32 v10, vcc, 0, v7, vcc
	v_mul_lo_u32 v11, s19, v4
	v_mul_lo_u32 v12, s18, v10
	v_mad_u64_u32 v[7:8], s[0:1], s18, v4, 0
	v_add3_u32 v8, v8, v12, v11
	v_sub_u32_e32 v11, v6, v8
	v_mov_b32_e32 v12, s19
	v_sub_co_u32_e32 v7, vcc, v5, v7
	v_subb_co_u32_e64 v11, s[0:1], v11, v12, vcc
	v_subrev_co_u32_e64 v12, s[0:1], s18, v7
	v_subbrev_co_u32_e64 v11, s[0:1], 0, v11, s[0:1]
	v_cmp_le_u32_e64 s[0:1], s19, v11
	v_cndmask_b32_e64 v13, 0, -1, s[0:1]
	v_cmp_le_u32_e64 s[0:1], s18, v12
	v_cndmask_b32_e64 v12, 0, -1, s[0:1]
	v_cmp_eq_u32_e64 s[0:1], s19, v11
	v_cndmask_b32_e64 v11, v13, v12, s[0:1]
	v_add_co_u32_e64 v12, s[0:1], 2, v4
	v_addc_co_u32_e64 v13, s[0:1], 0, v10, s[0:1]
	v_add_co_u32_e64 v14, s[0:1], 1, v4
	v_addc_co_u32_e64 v15, s[0:1], 0, v10, s[0:1]
	v_subb_co_u32_e32 v8, vcc, v6, v8, vcc
	v_cmp_ne_u32_e64 s[0:1], 0, v11
	v_cmp_le_u32_e32 vcc, s19, v8
	v_cndmask_b32_e64 v11, v15, v13, s[0:1]
	v_cndmask_b32_e64 v13, 0, -1, vcc
	v_cmp_le_u32_e32 vcc, s18, v7
	v_cndmask_b32_e64 v7, 0, -1, vcc
	v_cmp_eq_u32_e32 vcc, s19, v8
	v_cndmask_b32_e32 v7, v13, v7, vcc
	v_cmp_ne_u32_e32 vcc, 0, v7
	v_cndmask_b32_e64 v7, v14, v12, s[0:1]
	v_cndmask_b32_e32 v8, v10, v11, vcc
	v_cndmask_b32_e32 v7, v4, v7, vcc
.LBB0_4:                                ;   in Loop: Header=BB0_2 Depth=1
	s_andn2_saveexec_b64 s[0:1], s[20:21]
	s_cbranch_execz .LBB0_6
; %bb.5:                                ;   in Loop: Header=BB0_2 Depth=1
	v_cvt_f32_u32_e32 v4, s18
	s_sub_i32 s20, 0, s18
	v_rcp_iflag_f32_e32 v4, v4
	v_mul_f32_e32 v4, 0x4f7ffffe, v4
	v_cvt_u32_f32_e32 v4, v4
	v_mul_lo_u32 v7, s20, v4
	v_mul_hi_u32 v7, v4, v7
	v_add_u32_e32 v4, v4, v7
	v_mul_hi_u32 v4, v5, v4
	v_mul_lo_u32 v7, v4, s18
	v_add_u32_e32 v8, 1, v4
	v_sub_u32_e32 v7, v5, v7
	v_subrev_u32_e32 v10, s18, v7
	v_cmp_le_u32_e32 vcc, s18, v7
	v_cndmask_b32_e32 v7, v7, v10, vcc
	v_cndmask_b32_e32 v4, v4, v8, vcc
	v_add_u32_e32 v8, 1, v4
	v_cmp_le_u32_e32 vcc, s18, v7
	v_cndmask_b32_e32 v7, v4, v8, vcc
	v_mov_b32_e32 v8, v3
.LBB0_6:                                ;   in Loop: Header=BB0_2 Depth=1
	s_or_b64 exec, exec, s[0:1]
	v_mul_lo_u32 v4, v8, s18
	v_mul_lo_u32 v12, v7, s19
	v_mad_u64_u32 v[10:11], s[0:1], v7, s18, 0
	s_load_dwordx2 s[0:1], s[6:7], 0x0
	s_add_u32 s16, s16, 1
	v_add3_u32 v4, v11, v12, v4
	v_sub_co_u32_e32 v5, vcc, v5, v10
	v_subb_co_u32_e32 v4, vcc, v6, v4, vcc
	s_waitcnt lgkmcnt(0)
	v_mul_lo_u32 v4, s0, v4
	v_mul_lo_u32 v6, s1, v5
	v_mad_u64_u32 v[1:2], s[0:1], s0, v5, v[1:2]
	s_addc_u32 s17, s17, 0
	s_add_u32 s6, s6, 8
	v_add3_u32 v2, v6, v2, v4
	v_mov_b32_e32 v4, s10
	v_mov_b32_e32 v5, s11
	s_addc_u32 s7, s7, 0
	v_cmp_ge_u64_e32 vcc, s[16:17], v[4:5]
	s_add_u32 s14, s14, 8
	s_addc_u32 s15, s15, 0
	s_cbranch_vccnz .LBB0_9
; %bb.7:                                ;   in Loop: Header=BB0_2 Depth=1
	v_mov_b32_e32 v5, v7
	v_mov_b32_e32 v6, v8
	s_branch .LBB0_2
.LBB0_8:
	v_mov_b32_e32 v8, v6
	v_mov_b32_e32 v7, v5
.LBB0_9:
	s_lshl_b64 s[0:1], s[10:11], 3
	s_add_u32 s0, s2, s0
	s_addc_u32 s1, s3, s1
	s_load_dwordx2 s[2:3], s[0:1], 0x0
	s_load_dwordx2 s[6:7], s[4:5], 0x20
	s_waitcnt lgkmcnt(0)
	v_mad_u64_u32 v[3:4], s[0:1], s2, v7, v[1:2]
	s_mov_b32 s0, 0x13b13b14
	v_mul_lo_u32 v5, s2, v8
	v_mul_lo_u32 v6, s3, v7
	v_mul_hi_u32 v2, v0, s0
	v_and_b32_e32 v1, 3, v9
	v_mul_u32_u24_e32 v9, 0xb7, v1
	v_add3_u32 v4, v6, v4, v5
	v_mul_u32_u24_e32 v1, 13, v2
	v_cmp_gt_u64_e32 vcc, s[6:7], v[7:8]
	v_sub_u32_e32 v1, v0, v1
	v_lshlrev_b64 v[50:51], 3, v[3:4]
	v_mov_b32_e32 v2, 0
	v_lshlrev_b32_e32 v59, 3, v9
	v_mov_b32_e32 v48, v1
	s_and_saveexec_b64 s[2:3], vcc
	s_cbranch_execz .LBB0_13
; %bb.10:
	v_mov_b32_e32 v0, s13
	v_add_co_u32_e64 v3, s[0:1], s12, v50
	v_lshlrev_b64 v[5:6], 3, v[1:2]
	v_addc_co_u32_e64 v4, s[0:1], v0, v51, s[0:1]
	v_add_co_u32_e64 v5, s[0:1], v3, v5
	v_addc_co_u32_e64 v6, s[0:1], v4, v6, s[0:1]
	global_load_dwordx2 v[7:8], v[5:6], off
	global_load_dwordx2 v[10:11], v[5:6], off offset:104
	global_load_dwordx2 v[12:13], v[5:6], off offset:208
	;; [unrolled: 1-line block ×13, first 2 shown]
	v_lshlrev_b32_e32 v0, 3, v1
	v_mov_b32_e32 v6, v2
	v_cmp_eq_u32_e64 s[0:1], 12, v1
	v_add3_u32 v0, 0, v59, v0
	v_mov_b32_e32 v5, v1
	s_waitcnt vmcnt(12)
	ds_write2_b64 v0, v[7:8], v[10:11] offset1:13
	s_waitcnt vmcnt(10)
	ds_write2_b64 v0, v[12:13], v[14:15] offset0:26 offset1:39
	s_waitcnt vmcnt(8)
	ds_write2_b64 v0, v[16:17], v[18:19] offset0:52 offset1:65
	;; [unrolled: 2-line block ×6, first 2 shown]
	s_and_saveexec_b64 s[4:5], s[0:1]
	s_cbranch_execz .LBB0_12
; %bb.11:
	global_load_dwordx2 v[1:2], v[3:4], off offset:1456
	v_mov_b32_e32 v5, 12
	v_mov_b32_e32 v6, 0
	s_waitcnt vmcnt(0)
	ds_write_b64 v0, v[1:2] offset:1360
	v_mov_b32_e32 v1, 12
.LBB0_12:
	s_or_b64 exec, exec, s[4:5]
	v_mov_b32_e32 v48, v1
	v_mov_b32_e32 v1, v5
	;; [unrolled: 1-line block ×3, first 2 shown]
.LBB0_13:
	s_or_b64 exec, exec, s[2:3]
	v_lshl_add_u32 v58, v9, 3, 0
	v_lshlrev_b32_e32 v0, 3, v48
	v_add_u32_e32 v60, v58, v0
	s_waitcnt lgkmcnt(0)
	; wave barrier
	s_waitcnt lgkmcnt(0)
	v_sub_u32_e32 v3, v58, v0
	ds_read_b32 v4, v60
	ds_read_b32 v5, v3 offset:1456
	v_lshlrev_b64 v[52:53], 3, v[1:2]
	v_cmp_eq_u32_e64 s[0:1], 0, v48
	v_cmp_ne_u32_e64 s[2:3], 0, v48
	s_waitcnt lgkmcnt(0)
	v_add_f32_e32 v0, v5, v4
	v_sub_f32_e32 v1, v4, v5
	s_and_saveexec_b64 s[4:5], s[2:3]
	s_xor_b64 s[4:5], exec, s[4:5]
	s_cbranch_execz .LBB0_15
; %bb.14:
	v_mov_b32_e32 v1, s9
	v_add_co_u32_e64 v0, s[2:3], s8, v52
	v_addc_co_u32_e64 v1, s[2:3], v1, v53, s[2:3]
	global_load_dwordx2 v[6:7], v[0:1], off offset:1352
	ds_read_b32 v0, v3 offset:1460
	ds_read_b32 v1, v60 offset:4
	v_add_f32_e32 v2, v5, v4
	v_sub_f32_e32 v8, v4, v5
	s_waitcnt lgkmcnt(0)
	v_add_f32_e32 v9, v0, v1
	v_sub_f32_e32 v0, v1, v0
	s_waitcnt vmcnt(0)
	v_fma_f32 v4, -v8, v7, v2
	v_fma_f32 v5, v9, v7, -v0
	v_fma_f32 v10, v8, v7, v2
	v_fma_f32 v1, v9, v7, v0
	v_fmac_f32_e32 v4, v6, v9
	v_fmac_f32_e32 v5, v8, v6
	v_fma_f32 v0, -v6, v9, v10
	v_fmac_f32_e32 v1, v8, v6
	ds_write_b64 v3, v[4:5] offset:1456
.LBB0_15:
	s_andn2_saveexec_b64 s[2:3], s[4:5]
	s_cbranch_execz .LBB0_17
; %bb.16:
	ds_read_b64 v[4:5], v58 offset:728
	s_waitcnt lgkmcnt(0)
	v_add_f32_e32 v4, v4, v4
	v_mul_f32_e32 v5, -2.0, v5
	ds_write_b64 v58, v[4:5] offset:728
.LBB0_17:
	s_or_b64 exec, exec, s[2:3]
	v_mov_b32_e32 v49, 0
	s_add_u32 s2, s8, 0x548
	v_lshlrev_b64 v[4:5], 3, v[48:49]
	s_addc_u32 s3, s9, 0
	v_mov_b32_e32 v2, s3
	v_add_co_u32_e64 v4, s[2:3], s2, v4
	v_addc_co_u32_e64 v5, s[2:3], v2, v5, s[2:3]
	global_load_dwordx2 v[6:7], v[4:5], off offset:104
	global_load_dwordx2 v[8:9], v[4:5], off offset:208
	;; [unrolled: 1-line block ×4, first 2 shown]
	ds_write_b64 v60, v[0:1]
	ds_read_b64 v[0:1], v60 offset:104
	ds_read_b64 v[14:15], v3 offset:1352
	global_load_dwordx2 v[16:17], v[4:5], off offset:520
	s_mov_b32 s4, 0xbf788fa5
	s_mov_b32 s5, 0x3f62ad3f
	;; [unrolled: 1-line block ×3, first 2 shown]
	s_waitcnt lgkmcnt(0)
	v_add_f32_e32 v2, v0, v14
	v_add_f32_e32 v18, v15, v1
	v_sub_f32_e32 v19, v0, v14
	v_sub_f32_e32 v14, v1, v15
	s_mov_b32 s7, 0x3f116cb1
	s_mov_b32 s10, 0xbeb58ec6
	;; [unrolled: 1-line block ×3, first 2 shown]
	s_waitcnt vmcnt(4)
	v_fma_f32 v20, v19, v7, v2
	v_fma_f32 v15, v18, v7, v14
	v_fma_f32 v0, -v19, v7, v2
	v_fma_f32 v1, v18, v7, -v14
	v_fma_f32 v14, -v6, v18, v20
	v_fmac_f32_e32 v15, v19, v6
	v_fmac_f32_e32 v0, v6, v18
	;; [unrolled: 1-line block ×3, first 2 shown]
	ds_write_b64 v60, v[14:15] offset:104
	ds_write_b64 v3, v[0:1] offset:1352
	ds_read_b64 v[0:1], v60 offset:208
	ds_read_b64 v[6:7], v3 offset:1248
	global_load_dwordx2 v[4:5], v[4:5], off offset:624
	s_waitcnt lgkmcnt(0)
	v_add_f32_e32 v2, v0, v6
	v_add_f32_e32 v14, v7, v1
	v_sub_f32_e32 v15, v0, v6
	v_sub_f32_e32 v6, v1, v7
	s_waitcnt vmcnt(4)
	v_fma_f32 v18, v15, v9, v2
	v_fma_f32 v7, v14, v9, v6
	v_fma_f32 v0, -v15, v9, v2
	v_fma_f32 v1, v14, v9, -v6
	v_fma_f32 v6, -v8, v14, v18
	v_fmac_f32_e32 v7, v15, v8
	v_fmac_f32_e32 v0, v8, v14
	v_fmac_f32_e32 v1, v15, v8
	ds_write_b64 v60, v[6:7] offset:208
	ds_write_b64 v3, v[0:1] offset:1248
	ds_read_b64 v[0:1], v60 offset:312
	ds_read_b64 v[6:7], v3 offset:1144
	s_waitcnt lgkmcnt(0)
	v_add_f32_e32 v2, v0, v6
	v_add_f32_e32 v8, v7, v1
	v_sub_f32_e32 v9, v0, v6
	v_sub_f32_e32 v6, v1, v7
	s_waitcnt vmcnt(3)
	v_fma_f32 v14, v9, v11, v2
	v_fma_f32 v7, v8, v11, v6
	v_fma_f32 v0, -v9, v11, v2
	v_fma_f32 v1, v8, v11, -v6
	v_fma_f32 v6, -v10, v8, v14
	v_fmac_f32_e32 v7, v9, v10
	v_fmac_f32_e32 v0, v10, v8
	v_fmac_f32_e32 v1, v9, v10
	ds_write_b64 v60, v[6:7] offset:312
	ds_write_b64 v3, v[0:1] offset:1144
	ds_read_b64 v[0:1], v60 offset:416
	ds_read_b64 v[6:7], v3 offset:1040
	;; [unrolled: 18-line block ×4, first 2 shown]
	v_lshl_add_u32 v2, v48, 3, 0
	v_add_u32_e32 v49, v2, v59
	s_waitcnt lgkmcnt(0)
	v_add_f32_e32 v2, v0, v6
	v_add_f32_e32 v8, v7, v1
	v_sub_f32_e32 v9, v0, v6
	v_sub_f32_e32 v0, v1, v7
	s_waitcnt vmcnt(0)
	v_fma_f32 v10, v9, v5, v2
	v_fma_f32 v1, v8, v5, v0
	v_fma_f32 v6, -v9, v5, v2
	v_fma_f32 v7, v8, v5, -v0
	v_fma_f32 v0, -v4, v8, v10
	v_fmac_f32_e32 v1, v9, v4
	v_fmac_f32_e32 v6, v4, v8
	;; [unrolled: 1-line block ×3, first 2 shown]
	ds_write_b64 v60, v[0:1] offset:624
	ds_write_b64 v3, v[6:7] offset:832
	s_waitcnt lgkmcnt(0)
	; wave barrier
	s_waitcnt lgkmcnt(0)
	s_waitcnt lgkmcnt(0)
	; wave barrier
	s_waitcnt lgkmcnt(0)
	ds_read2_b64 v[4:7], v49 offset0:167 offset1:168
	ds_read2_b64 v[20:23], v49 offset0:27 offset1:28
	;; [unrolled: 1-line block ×4, first 2 shown]
	ds_read_b64 v[56:57], v60
	ds_read2_b64 v[8:11], v49 offset0:153 offset1:154
	ds_read2_b64 v[12:15], v49 offset0:139 offset1:140
	ds_read_b64 v[54:55], v49 offset:1448
	s_waitcnt lgkmcnt(4)
	v_sub_f32_e32 v87, v3, v7
	v_mul_f32_e32 v66, 0xbeedf032, v87
	s_waitcnt lgkmcnt(2)
	v_sub_f32_e32 v88, v23, v11
	v_add_f32_e32 v62, v6, v2
	v_add_f32_e32 v89, v7, v3
	v_mul_f32_e32 v64, 0xbf52af12, v88
	v_mov_b32_e32 v24, v66
	v_add_f32_e32 v61, v10, v22
	v_add_f32_e32 v90, v11, v23
	v_mul_f32_e32 v65, 0x3f62ad3f, v89
	v_mov_b32_e32 v25, v64
	v_fmac_f32_e32 v24, 0x3f62ad3f, v62
	v_sub_f32_e32 v63, v2, v6
	v_mov_b32_e32 v26, v65
	v_fmac_f32_e32 v25, 0x3f116cb1, v61
	v_add_f32_e32 v24, v56, v24
	v_mul_f32_e32 v68, 0x3f116cb1, v90
	v_fmac_f32_e32 v26, 0x3eedf032, v63
	v_add_f32_e32 v24, v25, v24
	v_sub_f32_e32 v67, v22, v10
	v_mov_b32_e32 v25, v68
	s_waitcnt lgkmcnt(1)
	v_sub_f32_e32 v91, v19, v15
	v_add_f32_e32 v26, v57, v26
	v_fmac_f32_e32 v25, 0x3f52af12, v67
	v_mul_f32_e32 v70, 0xbf7e222b, v91
	v_add_f32_e32 v28, v25, v26
	v_add_f32_e32 v69, v14, v18
	v_mov_b32_e32 v25, v70
	v_fmac_f32_e32 v25, 0x3df6dbef, v69
	v_add_f32_e32 v32, v25, v24
	v_add_f32_e32 v92, v15, v19
	ds_read2_b64 v[24:27], v49 offset0:125 offset1:126
	ds_read2_b64 v[44:47], v49 offset0:55 offset1:56
	v_mul_f32_e32 v72, 0x3df6dbef, v92
	v_sub_f32_e32 v71, v18, v14
	v_mov_b32_e32 v29, v72
	v_fmac_f32_e32 v29, 0x3f7e222b, v71
	v_add_f32_e32 v33, v29, v28
	ds_read2_b64 v[36:39], v49 offset0:69 offset1:70
	ds_read2_b64 v[28:31], v49 offset0:111 offset1:112
	s_waitcnt lgkmcnt(2)
	v_sub_f32_e32 v93, v47, v27
	v_mul_f32_e32 v74, 0xbf6f5d39, v93
	v_add_f32_e32 v73, v26, v46
	v_mov_b32_e32 v34, v74
	v_add_f32_e32 v94, v27, v47
	v_fmac_f32_e32 v34, 0xbeb58ec6, v73
	v_mul_f32_e32 v76, 0xbeb58ec6, v94
	v_add_f32_e32 v32, v34, v32
	v_sub_f32_e32 v75, v46, v26
	v_mov_b32_e32 v34, v76
	s_waitcnt lgkmcnt(0)
	v_sub_f32_e32 v95, v39, v31
	v_fmac_f32_e32 v34, 0x3f6f5d39, v75
	v_mul_f32_e32 v78, 0xbf29c268, v95
	v_add_f32_e32 v81, v34, v33
	v_add_f32_e32 v77, v30, v38
	v_mov_b32_e32 v33, v78
	v_fmac_f32_e32 v33, 0xbf3f9e67, v77
	v_add_f32_e32 v83, v33, v32
	ds_read2_b64 v[40:43], v49 offset0:83 offset1:84
	ds_read2_b64 v[32:35], v49 offset0:97 offset1:98
	v_add_f32_e32 v2, v56, v2
	v_add_f32_e32 v2, v2, v22
	;; [unrolled: 1-line block ×6, first 2 shown]
	v_mul_f32_e32 v80, 0xbf3f9e67, v96
	v_add_f32_e32 v3, v3, v19
	v_add_f32_e32 v2, v2, v46
	v_sub_f32_e32 v79, v38, v30
	v_mov_b32_e32 v82, v80
	v_add_f32_e32 v3, v3, v47
	v_add_f32_e32 v2, v2, v38
	v_fmac_f32_e32 v82, 0x3f29c268, v79
	s_waitcnt lgkmcnt(0)
	v_sub_f32_e32 v97, v43, v35
	v_add_f32_e32 v3, v3, v39
	v_add_f32_e32 v2, v2, v42
	;; [unrolled: 1-line block ×3, first 2 shown]
	v_mul_f32_e32 v82, 0xbe750f2a, v97
	v_add_f32_e32 v3, v3, v43
	v_add_f32_e32 v2, v2, v34
	;; [unrolled: 1-line block ×3, first 2 shown]
	v_mov_b32_e32 v84, v82
	v_add_f32_e32 v3, v3, v35
	v_add_f32_e32 v2, v2, v30
	v_fmac_f32_e32 v84, 0xbf788fa5, v81
	v_add_f32_e32 v98, v35, v43
	v_add_f32_e32 v3, v3, v31
	;; [unrolled: 1-line block ×4, first 2 shown]
	v_mul_f32_e32 v83, 0xbf788fa5, v98
	v_add_f32_e32 v3, v3, v27
	v_add_f32_e32 v2, v2, v14
	v_sub_f32_e32 v84, v42, v34
	v_mov_b32_e32 v99, v83
	v_add_f32_e32 v3, v3, v15
	v_add_f32_e32 v2, v2, v10
	v_fmac_f32_e32 v99, 0x3e750f2a, v84
	v_add_f32_e32 v3, v3, v11
	v_add_f32_e32 v2, v2, v6
	v_mul_u32_u24_e32 v6, 0x68, v48
	v_add_f32_e32 v86, v99, v86
	v_add_f32_e32 v3, v3, v7
	v_add3_u32 v10, 0, v6, v59
	v_mul_f32_e32 v11, 0xbf52af12, v87
	s_waitcnt lgkmcnt(0)
	; wave barrier
	ds_write2_b64 v10, v[2:3], v[85:86] offset1:1
	v_mov_b32_e32 v2, v11
	v_mul_f32_e32 v14, 0xbf6f5d39, v88
	v_fmac_f32_e32 v2, 0x3f116cb1, v62
	v_mov_b32_e32 v3, v14
	v_add_f32_e32 v2, v56, v2
	v_fmac_f32_e32 v3, 0xbeb58ec6, v61
	v_mul_f32_e32 v15, 0x3f116cb1, v89
	v_add_f32_e32 v2, v3, v2
	v_mov_b32_e32 v3, v15
	v_mul_f32_e32 v18, 0xbeb58ec6, v90
	v_fmac_f32_e32 v3, 0x3f52af12, v63
	v_mov_b32_e32 v6, v18
	v_add_f32_e32 v3, v57, v3
	v_fmac_f32_e32 v6, 0x3f6f5d39, v67
	v_mul_f32_e32 v19, 0xbe750f2a, v91
	v_add_f32_e32 v3, v6, v3
	v_mov_b32_e32 v6, v19
	v_fmac_f32_e32 v6, 0xbf788fa5, v69
	v_mul_f32_e32 v22, 0xbf788fa5, v92
	v_add_f32_e32 v2, v6, v2
	v_mov_b32_e32 v6, v22
	;; [unrolled: 4-line block ×9, first 2 shown]
	v_mul_f32_e32 v38, 0xbe750f2a, v88
	v_fmac_f32_e32 v6, 0x3df6dbef, v62
	v_mov_b32_e32 v7, v38
	v_add_f32_e32 v6, v56, v6
	v_fmac_f32_e32 v7, 0xbf788fa5, v61
	v_mul_f32_e32 v39, 0x3df6dbef, v89
	v_add_f32_e32 v6, v7, v6
	v_mov_b32_e32 v7, v39
	v_mul_f32_e32 v42, 0xbf788fa5, v90
	v_fmac_f32_e32 v7, 0x3f7e222b, v63
	v_mov_b32_e32 v43, v42
	v_add_f32_e32 v7, v57, v7
	v_fmac_f32_e32 v43, 0x3e750f2a, v67
	v_add_f32_e32 v7, v43, v7
	v_mul_f32_e32 v43, 0x3f6f5d39, v91
	v_mov_b32_e32 v46, v43
	v_fmac_f32_e32 v46, 0xbeb58ec6, v69
	v_add_f32_e32 v6, v46, v6
	v_mul_f32_e32 v46, 0xbeb58ec6, v92
	v_mov_b32_e32 v47, v46
	;; [unrolled: 4-line block ×8, first 2 shown]
	v_fmac_f32_e32 v102, 0x3f29c268, v84
	v_add_f32_e32 v7, v102, v7
	v_mul_f32_e32 v102, 0xbf6f5d39, v87
	ds_write2_b64 v10, v[2:3], v[6:7] offset0:2 offset1:3
	v_mov_b32_e32 v2, v102
	v_mul_f32_e32 v103, 0x3f29c268, v88
	v_fmac_f32_e32 v2, 0xbeb58ec6, v62
	v_mov_b32_e32 v3, v103
	v_add_f32_e32 v2, v56, v2
	v_fmac_f32_e32 v3, 0xbf3f9e67, v61
	v_mul_f32_e32 v104, 0xbeb58ec6, v89
	v_add_f32_e32 v2, v3, v2
	v_mov_b32_e32 v3, v104
	v_mul_f32_e32 v105, 0xbf3f9e67, v90
	v_fmac_f32_e32 v3, 0x3f6f5d39, v63
	v_mov_b32_e32 v6, v105
	v_add_f32_e32 v3, v57, v3
	v_fmac_f32_e32 v6, 0xbf29c268, v67
	v_mul_f32_e32 v106, 0x3eedf032, v91
	v_add_f32_e32 v3, v6, v3
	v_mov_b32_e32 v6, v106
	v_fmac_f32_e32 v6, 0x3f62ad3f, v69
	v_mul_f32_e32 v107, 0x3f62ad3f, v92
	v_add_f32_e32 v2, v6, v2
	v_mov_b32_e32 v6, v107
	;; [unrolled: 4-line block ×9, first 2 shown]
	v_mul_f32_e32 v115, 0x3f7e222b, v88
	v_fmac_f32_e32 v6, 0xbf3f9e67, v62
	v_mov_b32_e32 v7, v115
	v_add_f32_e32 v6, v56, v6
	v_fmac_f32_e32 v7, 0x3df6dbef, v61
	v_mul_f32_e32 v116, 0xbf3f9e67, v89
	v_add_f32_e32 v6, v7, v6
	v_mov_b32_e32 v7, v116
	v_mul_f32_e32 v117, 0x3df6dbef, v90
	v_fmac_f32_e32 v7, 0x3f29c268, v63
	v_mov_b32_e32 v118, v117
	v_add_f32_e32 v7, v57, v7
	v_fmac_f32_e32 v118, 0xbf7e222b, v67
	v_add_f32_e32 v7, v118, v7
	v_mul_f32_e32 v118, 0xbf52af12, v91
	v_mov_b32_e32 v119, v118
	v_fmac_f32_e32 v119, 0x3f116cb1, v69
	v_add_f32_e32 v6, v119, v6
	v_mul_f32_e32 v119, 0x3f116cb1, v92
	v_mov_b32_e32 v120, v119
	;; [unrolled: 4-line block ×8, first 2 shown]
	v_fmac_f32_e32 v126, 0x3f6f5d39, v84
	v_add_f32_e32 v7, v126, v7
	ds_write2_b64 v10, v[2:3], v[6:7] offset0:4 offset1:5
	v_mul_f32_e32 v6, 0xbe750f2a, v87
	v_mov_b32_e32 v2, v6
	v_mul_f32_e32 v7, 0x3eedf032, v88
	v_fmac_f32_e32 v2, 0xbf788fa5, v62
	v_mov_b32_e32 v3, v7
	v_add_f32_e32 v2, v56, v2
	v_fmac_f32_e32 v3, 0x3f62ad3f, v61
	v_mul_f32_e32 v87, 0xbf788fa5, v89
	v_add_f32_e32 v2, v3, v2
	v_mov_b32_e32 v3, v87
	v_mul_f32_e32 v88, 0x3f62ad3f, v90
	v_fmac_f32_e32 v3, 0x3e750f2a, v63
	v_mov_b32_e32 v89, v88
	v_add_f32_e32 v3, v57, v3
	v_fmac_f32_e32 v89, 0xbeedf032, v67
	v_add_f32_e32 v3, v89, v3
	v_mul_f32_e32 v89, 0xbf29c268, v91
	v_mov_b32_e32 v90, v89
	v_fmac_f32_e32 v90, 0xbf3f9e67, v69
	v_add_f32_e32 v2, v90, v2
	v_mul_f32_e32 v90, 0xbf3f9e67, v92
	v_mov_b32_e32 v91, v90
	;; [unrolled: 4-line block ×6, first 2 shown]
	v_fmac_f32_e32 v95, 0x3f6f5d39, v79
	v_fma_f32 v6, v62, s4, -v6
	v_add_f32_e32 v3, v95, v3
	v_mul_f32_e32 v95, 0x3f7e222b, v97
	v_add_f32_e32 v6, v56, v6
	v_fma_f32 v7, v61, s5, -v7
	v_fmac_f32_e32 v87, 0xbe750f2a, v63
	v_mov_b32_e32 v96, v95
	v_add_f32_e32 v6, v7, v6
	v_add_f32_e32 v7, v57, v87
	v_fmac_f32_e32 v88, 0x3eedf032, v67
	v_fmac_f32_e32 v96, 0x3df6dbef, v81
	v_add_f32_e32 v7, v88, v7
	v_fma_f32 v87, v69, s6, -v89
	v_fmac_f32_e32 v90, 0xbf29c268, v71
	v_add_f32_e32 v2, v96, v2
	v_mul_f32_e32 v96, 0x3df6dbef, v98
	v_add_f32_e32 v6, v87, v6
	v_add_f32_e32 v7, v90, v7
	v_fma_f32 v87, v73, s7, -v91
	v_fmac_f32_e32 v92, 0x3f52af12, v75
	v_mov_b32_e32 v97, v96
	v_add_f32_e32 v6, v87, v6
	v_add_f32_e32 v7, v92, v7
	v_fma_f32 v87, v77, s10, -v93
	v_fmac_f32_e32 v94, 0xbf6f5d39, v79
	v_fmac_f32_e32 v97, 0xbf7e222b, v84
	v_add_f32_e32 v6, v87, v6
	v_add_f32_e32 v7, v94, v7
	v_fma_f32 v87, v81, s11, -v95
	v_fmac_f32_e32 v96, 0x3f7e222b, v84
	v_add_f32_e32 v3, v97, v3
	v_add_f32_e32 v6, v87, v6
	;; [unrolled: 1-line block ×3, first 2 shown]
	ds_write2_b64 v10, v[2:3], v[6:7] offset0:6 offset1:7
	v_fma_f32 v2, v62, s10, -v102
	v_add_f32_e32 v2, v56, v2
	v_fma_f32 v3, v61, s6, -v103
	v_add_f32_e32 v2, v3, v2
	;; [unrolled: 2-line block ×6, first 2 shown]
	v_fma_f32 v6, v62, s6, -v114
	v_fmac_f32_e32 v104, 0xbf6f5d39, v63
	v_add_f32_e32 v6, v56, v6
	v_fma_f32 v7, v61, s11, -v115
	v_fmac_f32_e32 v116, 0xbf29c268, v63
	v_add_f32_e32 v3, v57, v104
	v_fmac_f32_e32 v105, 0x3f29c268, v67
	v_add_f32_e32 v6, v7, v6
	v_add_f32_e32 v7, v57, v116
	v_fmac_f32_e32 v117, 0x3f7e222b, v67
	v_add_f32_e32 v3, v105, v3
	v_fmac_f32_e32 v107, 0x3eedf032, v71
	v_add_f32_e32 v7, v117, v7
	v_fma_f32 v87, v69, s7, -v118
	v_fmac_f32_e32 v119, 0xbf52af12, v71
	v_add_f32_e32 v3, v107, v3
	v_fmac_f32_e32 v109, 0xbf7e222b, v75
	v_add_f32_e32 v6, v87, v6
	v_add_f32_e32 v7, v119, v7
	v_fma_f32 v87, v73, s4, -v120
	v_fmac_f32_e32 v121, 0x3e750f2a, v75
	v_add_f32_e32 v3, v109, v3
	v_fmac_f32_e32 v111, 0x3e750f2a, v79
	v_add_f32_e32 v6, v87, v6
	;; [unrolled: 6-line block ×3, first 2 shown]
	v_add_f32_e32 v7, v123, v7
	v_fma_f32 v87, v81, s10, -v124
	v_fmac_f32_e32 v125, 0xbf6f5d39, v84
	v_add_f32_e32 v3, v113, v3
	v_add_f32_e32 v6, v87, v6
	;; [unrolled: 1-line block ×3, first 2 shown]
	ds_write2_b64 v10, v[6:7], v[2:3] offset0:8 offset1:9
	v_fma_f32 v2, v62, s7, -v11
	v_add_f32_e32 v2, v56, v2
	v_fma_f32 v3, v61, s10, -v14
	v_add_f32_e32 v2, v3, v2
	;; [unrolled: 2-line block ×6, first 2 shown]
	v_fma_f32 v6, v62, s11, -v35
	v_fmac_f32_e32 v15, 0xbf52af12, v63
	v_add_f32_e32 v6, v56, v6
	v_fma_f32 v7, v61, s4, -v38
	v_fmac_f32_e32 v39, 0xbf7e222b, v63
	v_add_f32_e32 v3, v57, v15
	v_fmac_f32_e32 v18, 0xbf6f5d39, v67
	v_add_f32_e32 v6, v7, v6
	v_add_f32_e32 v7, v57, v39
	v_fmac_f32_e32 v42, 0xbe750f2a, v67
	v_add_f32_e32 v3, v18, v3
	v_fmac_f32_e32 v22, 0xbe750f2a, v71
	v_add_f32_e32 v7, v42, v7
	v_fma_f32 v11, v69, s10, -v43
	v_fmac_f32_e32 v46, 0x3f6f5d39, v71
	v_add_f32_e32 v3, v22, v3
	v_fmac_f32_e32 v26, 0x3f29c268, v75
	v_add_f32_e32 v6, v11, v6
	v_add_f32_e32 v7, v46, v7
	v_fma_f32 v11, v73, s5, -v47
	v_fmac_f32_e32 v85, 0x3eedf032, v75
	v_add_f32_e32 v3, v26, v3
	v_fmac_f32_e32 v30, 0x3f7e222b, v79
	v_add_f32_e32 v6, v11, v6
	;; [unrolled: 6-line block ×3, first 2 shown]
	v_add_f32_e32 v7, v99, v7
	v_fma_f32 v11, v81, s6, -v100
	v_fmac_f32_e32 v101, 0xbf29c268, v84
	v_add_f32_e32 v3, v34, v3
	v_add_f32_e32 v6, v11, v6
	;; [unrolled: 1-line block ×3, first 2 shown]
	ds_write2_b64 v10, v[6:7], v[2:3] offset0:10 offset1:11
	v_fma_f32 v2, v62, s5, -v66
	v_fmac_f32_e32 v65, 0xbeedf032, v63
	v_add_f32_e32 v2, v56, v2
	v_add_f32_e32 v3, v57, v65
	v_fma_f32 v6, v61, s7, -v64
	v_fmac_f32_e32 v68, 0xbf52af12, v67
	v_add_f32_e32 v2, v6, v2
	v_add_f32_e32 v3, v68, v3
	;; [unrolled: 4-line block ×6, first 2 shown]
	ds_write_b64 v10, v[2:3] offset:96
	s_and_saveexec_b64 s[2:3], s[0:1]
	s_cbranch_execz .LBB0_19
; %bb.18:
	v_add_f32_e32 v38, v55, v21
	v_mul_f32_e32 v39, 0xbf788fa5, v38
	v_add_f32_e32 v42, v5, v17
	v_sub_f32_e32 v14, v20, v54
	v_mov_b32_e32 v2, v39
	v_mul_f32_e32 v43, 0x3f62ad3f, v42
	v_fmac_f32_e32 v2, 0x3e750f2a, v14
	v_sub_f32_e32 v15, v16, v4
	v_mov_b32_e32 v3, v43
	v_add_f32_e32 v46, v9, v45
	v_add_f32_e32 v2, v1, v2
	v_fmac_f32_e32 v3, 0xbeedf032, v15
	v_mul_f32_e32 v47, 0xbf3f9e67, v46
	v_add_f32_e32 v2, v3, v2
	v_sub_f32_e32 v18, v44, v8
	v_mov_b32_e32 v3, v47
	v_add_f32_e32 v56, v13, v37
	v_fmac_f32_e32 v3, 0x3f29c268, v18
	v_mul_f32_e32 v57, 0x3f116cb1, v56
	v_add_f32_e32 v2, v3, v2
	v_sub_f32_e32 v19, v36, v12
	v_mov_b32_e32 v3, v57
	v_add_f32_e32 v61, v25, v41
	v_fmac_f32_e32 v3, 0xbf52af12, v19
	v_mul_f32_e32 v62, 0xbeb58ec6, v61
	v_add_f32_e32 v2, v3, v2
	v_sub_f32_e32 v22, v40, v24
	v_mov_b32_e32 v3, v62
	v_add_f32_e32 v63, v29, v33
	v_fmac_f32_e32 v3, 0x3f6f5d39, v22
	v_mul_f32_e32 v64, 0x3df6dbef, v63
	v_add_f32_e32 v2, v3, v2
	v_sub_f32_e32 v23, v32, v28
	v_mov_b32_e32 v3, v64
	v_sub_f32_e32 v65, v21, v55
	v_fmac_f32_e32 v3, 0xbf7e222b, v23
	v_mul_f32_e32 v66, 0xbe750f2a, v65
	v_sub_f32_e32 v67, v17, v5
	v_add_f32_e32 v3, v3, v2
	v_add_f32_e32 v26, v54, v20
	v_mov_b32_e32 v2, v66
	v_mul_f32_e32 v68, 0x3eedf032, v67
	v_fmac_f32_e32 v2, 0xbf788fa5, v26
	v_add_f32_e32 v27, v4, v16
	v_mov_b32_e32 v6, v68
	v_sub_f32_e32 v69, v45, v9
	v_add_f32_e32 v2, v0, v2
	v_fmac_f32_e32 v6, 0x3f62ad3f, v27
	v_mul_f32_e32 v70, 0xbf29c268, v69
	v_add_f32_e32 v2, v6, v2
	v_add_f32_e32 v30, v8, v44
	v_mov_b32_e32 v6, v70
	v_sub_f32_e32 v71, v37, v13
	v_fmac_f32_e32 v6, 0xbf3f9e67, v30
	v_mul_f32_e32 v72, 0x3f52af12, v71
	v_add_f32_e32 v2, v6, v2
	v_add_f32_e32 v31, v12, v36
	v_mov_b32_e32 v6, v72
	v_sub_f32_e32 v73, v41, v25
	;; [unrolled: 6-line block ×3, first 2 shown]
	v_fmac_f32_e32 v6, 0xbeb58ec6, v34
	v_mul_f32_e32 v76, 0x3f7e222b, v75
	v_add_f32_e32 v2, v6, v2
	v_add_f32_e32 v35, v28, v32
	v_mov_b32_e32 v6, v76
	v_fmac_f32_e32 v6, 0x3df6dbef, v35
	v_mul_f32_e32 v77, 0xbf3f9e67, v38
	v_add_f32_e32 v2, v6, v2
	v_mov_b32_e32 v6, v77
	v_mul_f32_e32 v78, 0x3df6dbef, v42
	v_fmac_f32_e32 v6, 0x3f29c268, v14
	v_mov_b32_e32 v7, v78
	v_add_f32_e32 v6, v1, v6
	v_fmac_f32_e32 v7, 0xbf7e222b, v15
	v_mul_f32_e32 v79, 0x3f116cb1, v46
	v_add_f32_e32 v6, v7, v6
	v_mov_b32_e32 v7, v79
	v_fmac_f32_e32 v7, 0x3f52af12, v18
	v_mul_f32_e32 v80, 0xbf788fa5, v56
	v_add_f32_e32 v6, v7, v6
	v_mov_b32_e32 v7, v80
	v_fmac_f32_e32 v7, 0xbe750f2a, v19
	v_mul_f32_e32 v81, 0x3f62ad3f, v61
	v_add_f32_e32 v6, v7, v6
	v_mov_b32_e32 v7, v81
	v_fmac_f32_e32 v7, 0xbeedf032, v22
	v_mul_f32_e32 v82, 0xbeb58ec6, v63
	v_add_f32_e32 v6, v7, v6
	v_mov_b32_e32 v7, v82
	v_fmac_f32_e32 v7, 0x3f6f5d39, v23
	v_mul_f32_e32 v83, 0xbf29c268, v65
	v_add_f32_e32 v7, v7, v6
	v_mov_b32_e32 v6, v83
	v_mul_f32_e32 v84, 0x3f7e222b, v67
	v_fmac_f32_e32 v6, 0xbf3f9e67, v26
	v_mov_b32_e32 v10, v84
	v_add_f32_e32 v6, v0, v6
	v_fmac_f32_e32 v10, 0x3df6dbef, v27
	v_mul_f32_e32 v85, 0xbf52af12, v69
	v_add_f32_e32 v6, v10, v6
	v_mov_b32_e32 v10, v85
	v_fmac_f32_e32 v10, 0x3f116cb1, v30
	v_mul_f32_e32 v86, 0x3e750f2a, v71
	v_add_f32_e32 v6, v10, v6
	v_mov_b32_e32 v10, v86
	v_fmac_f32_e32 v10, 0xbf788fa5, v31
	v_mul_f32_e32 v87, 0x3eedf032, v73
	v_add_f32_e32 v6, v10, v6
	v_mov_b32_e32 v10, v87
	v_fmac_f32_e32 v10, 0x3f62ad3f, v34
	v_mul_f32_e32 v88, 0xbf6f5d39, v75
	v_add_f32_e32 v6, v10, v6
	v_mov_b32_e32 v10, v88
	v_fmac_f32_e32 v10, 0xbeb58ec6, v35
	v_mul_f32_e32 v89, 0xbeb58ec6, v38
	v_add_f32_e32 v6, v10, v6
	v_mov_b32_e32 v10, v89
	v_mul_f32_e32 v90, 0xbf3f9e67, v42
	v_fmac_f32_e32 v10, 0x3f6f5d39, v14
	v_mov_b32_e32 v11, v90
	v_add_f32_e32 v10, v1, v10
	v_fmac_f32_e32 v11, 0xbf29c268, v15
	v_mul_f32_e32 v91, 0x3f62ad3f, v46
	v_add_f32_e32 v10, v11, v10
	v_mov_b32_e32 v11, v91
	v_fmac_f32_e32 v11, 0xbeedf032, v18
	v_mul_f32_e32 v92, 0x3df6dbef, v56
	v_add_f32_e32 v10, v11, v10
	v_mov_b32_e32 v11, v92
	v_fmac_f32_e32 v11, 0x3f7e222b, v19
	v_mul_f32_e32 v93, 0xbf788fa5, v61
	v_add_f32_e32 v10, v11, v10
	v_mov_b32_e32 v11, v93
	v_fmac_f32_e32 v11, 0xbe750f2a, v22
	v_mul_f32_e32 v94, 0x3f116cb1, v63
	v_add_f32_e32 v10, v11, v10
	v_mov_b32_e32 v11, v94
	v_fmac_f32_e32 v11, 0xbf52af12, v23
	v_mul_f32_e32 v95, 0xbf6f5d39, v65
	v_add_f32_e32 v11, v11, v10
	v_mov_b32_e32 v10, v95
	v_mul_f32_e32 v96, 0x3f29c268, v67
	v_fmac_f32_e32 v10, 0xbeb58ec6, v26
	v_mov_b32_e32 v97, v96
	v_add_f32_e32 v10, v0, v10
	v_fmac_f32_e32 v97, 0xbf3f9e67, v27
	v_add_f32_e32 v10, v97, v10
	v_mul_f32_e32 v97, 0x3eedf032, v69
	v_mov_b32_e32 v98, v97
	v_fmac_f32_e32 v98, 0x3f62ad3f, v30
	v_add_f32_e32 v10, v98, v10
	v_mul_f32_e32 v98, 0xbf7e222b, v71
	v_mov_b32_e32 v99, v98
	;; [unrolled: 4-line block ×4, first 2 shown]
	v_fmac_f32_e32 v101, 0x3f116cb1, v35
	v_add_f32_e32 v21, v1, v21
	v_add_f32_e32 v10, v101, v10
	v_mul_f32_e32 v101, 0x3df6dbef, v38
	v_add_f32_e32 v21, v21, v17
	v_mov_b32_e32 v102, v101
	v_mul_f32_e32 v103, 0xbf788fa5, v42
	v_add_f32_e32 v21, v21, v45
	v_fmac_f32_e32 v102, 0x3f7e222b, v14
	v_mov_b32_e32 v104, v103
	v_add_f32_e32 v20, v0, v20
	v_add_f32_e32 v21, v21, v37
	;; [unrolled: 1-line block ×3, first 2 shown]
	v_fmac_f32_e32 v104, 0x3e750f2a, v15
	v_add_f32_e32 v16, v20, v16
	v_add_f32_e32 v41, v21, v41
	v_add_f32_e32 v102, v104, v102
	v_mul_f32_e32 v104, 0xbeb58ec6, v46
	v_add_f32_e32 v44, v16, v44
	v_add_f32_e32 v33, v41, v33
	v_mov_b32_e32 v105, v104
	v_mul_f32_e32 v108, 0xbf7e222b, v65
	v_add_f32_e32 v36, v44, v36
	v_add_f32_e32 v33, v33, v29
	v_fmac_f32_e32 v105, 0xbf6f5d39, v18
	v_mov_b32_e32 v109, v108
	v_mul_f32_e32 v110, 0xbe750f2a, v67
	v_add_f32_e32 v36, v36, v40
	v_add_f32_e32 v25, v33, v25
	;; [unrolled: 1-line block ×3, first 2 shown]
	v_mul_f32_e32 v105, 0x3f62ad3f, v56
	v_fmac_f32_e32 v109, 0x3df6dbef, v26
	v_mov_b32_e32 v17, v110
	v_add_f32_e32 v32, v36, v32
	v_add_f32_e32 v13, v25, v13
	v_mov_b32_e32 v106, v105
	v_add_f32_e32 v109, v0, v109
	v_fmac_f32_e32 v17, 0xbf788fa5, v27
	v_add_f32_e32 v32, v32, v28
	v_add_f32_e32 v9, v13, v9
	v_fmac_f32_e32 v106, 0xbeedf032, v19
	v_add_f32_e32 v17, v17, v109
	v_mul_f32_e32 v109, 0x3f6f5d39, v69
	v_add_f32_e32 v5, v9, v5
	v_add_f32_e32 v9, v32, v24
	;; [unrolled: 1-line block ×3, first 2 shown]
	v_mul_f32_e32 v106, 0x3f116cb1, v61
	v_mov_b32_e32 v20, v109
	v_add_f32_e32 v9, v9, v12
	v_mov_b32_e32 v107, v106
	v_fmac_f32_e32 v20, 0xbeb58ec6, v30
	v_mul_f32_e32 v111, 0x3eedf032, v71
	v_add_f32_e32 v8, v9, v8
	v_fmac_f32_e32 v39, 0xbe750f2a, v14
	v_fmac_f32_e32 v107, 0x3f52af12, v22
	v_add_f32_e32 v17, v20, v17
	v_mov_b32_e32 v20, v111
	v_add_f32_e32 v4, v8, v4
	v_add_f32_e32 v8, v1, v39
	v_fmac_f32_e32 v43, 0x3eedf032, v15
	v_add_f32_e32 v102, v107, v102
	v_mul_f32_e32 v107, 0xbf3f9e67, v63
	v_fmac_f32_e32 v20, 0x3f62ad3f, v31
	v_add_f32_e32 v8, v43, v8
	v_fmac_f32_e32 v47, 0xbf29c268, v18
	v_add_f32_e32 v20, v20, v17
	v_mov_b32_e32 v17, v107
	v_mul_f32_e32 v45, 0xbf52af12, v73
	v_add_f32_e32 v8, v47, v8
	v_fmac_f32_e32 v57, 0x3f52af12, v19
	v_fmac_f32_e32 v17, 0x3f29c268, v23
	v_mov_b32_e32 v16, v45
	v_add_f32_e32 v8, v57, v8
	v_fmac_f32_e32 v62, 0xbf6f5d39, v22
	v_add_f32_e32 v17, v17, v102
	v_fmac_f32_e32 v16, 0x3f116cb1, v34
	v_mul_f32_e32 v102, 0xbf29c268, v75
	v_add_f32_e32 v8, v62, v8
	v_fmac_f32_e32 v64, 0x3f7e222b, v23
	v_add_f32_e32 v16, v16, v20
	v_mov_b32_e32 v20, v102
	v_add_f32_e32 v9, v64, v8
	v_fma_f32 v8, v26, s4, -v66
	v_fmac_f32_e32 v20, 0xbf3f9e67, v35
	v_mul_f32_e32 v112, 0x3f116cb1, v38
	v_add_f32_e32 v8, v0, v8
	v_fma_f32 v12, v27, s5, -v68
	v_add_f32_e32 v16, v20, v16
	v_mov_b32_e32 v20, v112
	v_mul_f32_e32 v113, 0xbeb58ec6, v42
	v_add_f32_e32 v8, v12, v8
	v_fma_f32 v12, v30, s6, -v70
	v_fmac_f32_e32 v20, 0x3f52af12, v14
	v_mov_b32_e32 v114, v113
	v_mul_f32_e32 v37, 0xbf788fa5, v46
	v_add_f32_e32 v8, v12, v8
	v_fma_f32 v12, v31, s7, -v72
	v_add_f32_e32 v20, v1, v20
	v_fmac_f32_e32 v114, 0x3f6f5d39, v15
	v_mov_b32_e32 v44, v37
	v_add_f32_e32 v8, v12, v8
	v_fma_f32 v12, v34, s10, -v74
	v_add_f32_e32 v20, v114, v20
	v_fmac_f32_e32 v44, 0x3e750f2a, v18
	v_add_f32_e32 v8, v12, v8
	v_fma_f32 v12, v35, s11, -v76
	v_fmac_f32_e32 v77, 0xbf29c268, v14
	v_add_f32_e32 v20, v44, v20
	v_mul_f32_e32 v44, 0xbf3f9e67, v56
	v_add_f32_e32 v8, v12, v8
	v_add_f32_e32 v12, v1, v77
	v_fmac_f32_e32 v78, 0x3f7e222b, v15
	v_mov_b32_e32 v114, v44
	v_add_f32_e32 v12, v78, v12
	v_fmac_f32_e32 v79, 0xbf52af12, v18
	v_fmac_f32_e32 v114, 0xbf29c268, v19
	v_add_f32_e32 v12, v79, v12
	v_fmac_f32_e32 v80, 0x3e750f2a, v19
	v_add_f32_e32 v20, v114, v20
	v_mul_f32_e32 v114, 0x3df6dbef, v61
	v_mul_f32_e32 v40, 0xbf52af12, v65
	v_add_f32_e32 v12, v80, v12
	v_fmac_f32_e32 v81, 0x3eedf032, v22
	v_mov_b32_e32 v115, v114
	v_mov_b32_e32 v21, v40
	v_mul_f32_e32 v116, 0xbf6f5d39, v67
	v_add_f32_e32 v12, v81, v12
	v_fmac_f32_e32 v82, 0xbf6f5d39, v23
	v_fmac_f32_e32 v115, 0xbf7e222b, v22
	;; [unrolled: 1-line block ×3, first 2 shown]
	v_mov_b32_e32 v117, v116
	v_add_f32_e32 v13, v82, v12
	v_fma_f32 v12, v26, s6, -v83
	v_add_f32_e32 v20, v115, v20
	v_mul_f32_e32 v115, 0x3f62ad3f, v63
	v_add_f32_e32 v21, v0, v21
	v_fmac_f32_e32 v117, 0xbeb58ec6, v27
	v_add_f32_e32 v12, v0, v12
	v_fma_f32 v24, v27, s11, -v84
	v_add_f32_e32 v117, v117, v21
	v_mov_b32_e32 v21, v115
	v_add_f32_e32 v12, v24, v12
	v_fma_f32 v24, v30, s7, -v85
	v_fmac_f32_e32 v21, 0xbeedf032, v23
	v_mul_f32_e32 v36, 0xbe750f2a, v69
	v_add_f32_e32 v12, v24, v12
	v_fma_f32 v24, v31, s4, -v86
	v_add_f32_e32 v21, v21, v20
	v_mov_b32_e32 v20, v36
	v_add_f32_e32 v12, v24, v12
	v_fma_f32 v24, v34, s5, -v87
	v_fmac_f32_e32 v20, 0xbf788fa5, v30
	v_mul_f32_e32 v41, 0x3f29c268, v71
	v_add_f32_e32 v12, v24, v12
	v_fma_f32 v24, v35, s10, -v88
	v_fmac_f32_e32 v89, 0xbf6f5d39, v14
	v_add_f32_e32 v20, v20, v117
	v_mov_b32_e32 v117, v41
	v_add_f32_e32 v12, v24, v12
	v_add_f32_e32 v24, v1, v89
	v_fmac_f32_e32 v90, 0x3f29c268, v15
	v_fmac_f32_e32 v117, 0xbf3f9e67, v31
	v_add_f32_e32 v24, v90, v24
	v_fmac_f32_e32 v91, 0x3eedf032, v18
	v_add_f32_e32 v20, v117, v20
	v_mul_f32_e32 v117, 0x3f7e222b, v73
	v_add_f32_e32 v24, v91, v24
	v_fmac_f32_e32 v92, 0xbf7e222b, v19
	v_mov_b32_e32 v118, v117
	v_add_f32_e32 v24, v92, v24
	v_fmac_f32_e32 v93, 0x3e750f2a, v22
	v_fmac_f32_e32 v118, 0x3df6dbef, v34
	v_add_f32_e32 v24, v93, v24
	v_fmac_f32_e32 v94, 0x3f52af12, v23
	v_add_f32_e32 v20, v118, v20
	v_mul_f32_e32 v118, 0x3eedf032, v75
	v_add_f32_e32 v25, v94, v24
	v_fma_f32 v24, v26, s10, -v95
	v_mov_b32_e32 v119, v118
	v_add_f32_e32 v24, v0, v24
	v_fma_f32 v32, v27, s6, -v96
	v_fmac_f32_e32 v119, 0x3f62ad3f, v35
	v_mul_f32_e32 v38, 0x3f62ad3f, v38
	v_add_f32_e32 v24, v32, v24
	v_fma_f32 v32, v30, s5, -v97
	v_add_f32_e32 v20, v119, v20
	v_mov_b32_e32 v119, v38
	v_mul_f32_e32 v42, 0x3f116cb1, v42
	v_add_f32_e32 v24, v32, v24
	v_fma_f32 v32, v31, s11, -v98
	v_fmac_f32_e32 v119, 0x3eedf032, v14
	v_mov_b32_e32 v120, v42
	v_add_f32_e32 v24, v32, v24
	v_fma_f32 v32, v34, s4, -v99
	v_add_f32_e32 v119, v1, v119
	v_fmac_f32_e32 v120, 0x3f52af12, v15
	v_mul_f32_e32 v46, 0x3df6dbef, v46
	v_add_f32_e32 v24, v32, v24
	v_fma_f32 v32, v35, s7, -v100
	v_fmac_f32_e32 v101, 0xbf7e222b, v14
	v_add_f32_e32 v119, v120, v119
	v_mov_b32_e32 v120, v46
	v_add_f32_e32 v24, v32, v24
	v_add_f32_e32 v32, v1, v101
	v_fmac_f32_e32 v103, 0xbe750f2a, v15
	v_fmac_f32_e32 v120, 0x3f7e222b, v18
	v_mul_f32_e32 v56, 0xbeb58ec6, v56
	v_add_f32_e32 v32, v103, v32
	v_fmac_f32_e32 v104, 0x3f6f5d39, v18
	v_add_f32_e32 v119, v120, v119
	v_mov_b32_e32 v120, v56
	v_add_f32_e32 v32, v104, v32
	v_fmac_f32_e32 v105, 0x3eedf032, v19
	v_fmac_f32_e32 v120, 0x3f6f5d39, v19
	v_mul_f32_e32 v61, 0xbf3f9e67, v61
	v_add_f32_e32 v32, v105, v32
	v_fmac_f32_e32 v106, 0xbf52af12, v22
	v_add_f32_e32 v119, v120, v119
	v_mov_b32_e32 v120, v61
	v_mul_f32_e32 v63, 0xbf788fa5, v63
	v_add_f32_e32 v32, v106, v32
	v_fmac_f32_e32 v107, 0xbf29c268, v23
	v_fmac_f32_e32 v120, 0x3f29c268, v22
	v_mov_b32_e32 v28, v63
	v_add_f32_e32 v33, v107, v32
	v_fma_f32 v32, v26, s11, -v108
	v_add_f32_e32 v119, v120, v119
	v_fmac_f32_e32 v28, 0x3e750f2a, v23
	v_mul_f32_e32 v65, 0xbeedf032, v65
	v_add_f32_e32 v32, v0, v32
	v_fma_f32 v39, v27, s4, -v110
	v_add_f32_e32 v29, v28, v119
	v_mov_b32_e32 v28, v65
	v_mul_f32_e32 v67, 0xbf52af12, v67
	v_add_f32_e32 v32, v39, v32
	v_fma_f32 v39, v30, s10, -v109
	v_fmac_f32_e32 v28, 0x3f62ad3f, v26
	v_mov_b32_e32 v119, v67
	v_add_f32_e32 v32, v39, v32
	v_fma_f32 v39, v31, s5, -v111
	v_add_f32_e32 v28, v0, v28
	v_fmac_f32_e32 v119, 0x3f116cb1, v27
	v_mul_f32_e32 v69, 0xbf7e222b, v69
	v_add_f32_e32 v32, v39, v32
	v_fma_f32 v39, v34, s7, -v45
	v_add_f32_e32 v28, v119, v28
	v_mov_b32_e32 v119, v69
	v_add_f32_e32 v32, v39, v32
	v_fma_f32 v39, v35, s6, -v102
	v_fmac_f32_e32 v112, 0xbf52af12, v14
	v_fmac_f32_e32 v119, 0x3df6dbef, v30
	v_mul_f32_e32 v71, 0xbf6f5d39, v71
	v_add_f32_e32 v32, v39, v32
	v_add_f32_e32 v39, v1, v112
	v_fmac_f32_e32 v113, 0xbf6f5d39, v15
	v_add_f32_e32 v28, v119, v28
	v_mov_b32_e32 v119, v71
	v_add_f32_e32 v39, v113, v39
	v_fmac_f32_e32 v37, 0xbe750f2a, v18
	v_fmac_f32_e32 v119, 0xbeb58ec6, v31
	v_mul_f32_e32 v73, 0xbf29c268, v73
	v_add_f32_e32 v37, v37, v39
	v_fma_f32 v39, v26, s7, -v40
	v_fmac_f32_e32 v38, 0xbeedf032, v14
	v_fma_f32 v14, v26, s5, -v65
	v_add_f32_e32 v28, v119, v28
	v_mov_b32_e32 v119, v73
	v_add_f32_e32 v39, v0, v39
	v_fma_f32 v40, v27, s10, -v116
	v_add_f32_e32 v1, v1, v38
	v_fmac_f32_e32 v42, 0xbf52af12, v15
	v_add_f32_e32 v0, v0, v14
	v_fma_f32 v14, v27, s7, -v67
	v_fmac_f32_e32 v119, 0xbf3f9e67, v34
	v_mul_f32_e32 v75, 0xbe750f2a, v75
	v_add_f32_e32 v39, v40, v39
	v_fma_f32 v36, v30, s4, -v36
	v_add_f32_e32 v1, v42, v1
	v_fmac_f32_e32 v46, 0xbf7e222b, v18
	v_add_f32_e32 v0, v14, v0
	v_fma_f32 v14, v30, s11, -v69
	v_add_f32_e32 v28, v119, v28
	v_mov_b32_e32 v119, v75
	v_fmac_f32_e32 v44, 0x3f29c268, v19
	v_add_f32_e32 v36, v36, v39
	v_fma_f32 v39, v31, s6, -v41
	v_add_f32_e32 v1, v46, v1
	v_fmac_f32_e32 v56, 0xbf6f5d39, v19
	v_add_f32_e32 v0, v14, v0
	v_fma_f32 v14, v31, s10, -v71
	v_fmac_f32_e32 v119, 0xbf788fa5, v35
	v_add_f32_e32 v37, v44, v37
	v_fmac_f32_e32 v114, 0x3f7e222b, v22
	v_add_f32_e32 v36, v39, v36
	v_fma_f32 v39, v34, s11, -v117
	v_add_f32_e32 v1, v56, v1
	v_fmac_f32_e32 v61, 0xbf29c268, v22
	v_add_f32_e32 v0, v14, v0
	v_fma_f32 v14, v34, s6, -v73
	v_add_f32_e32 v28, v119, v28
	v_add_f32_e32 v5, v5, v55
	;; [unrolled: 1-line block ×4, first 2 shown]
	v_fmac_f32_e32 v115, 0x3eedf032, v23
	v_add_f32_e32 v36, v39, v36
	v_fma_f32 v39, v35, s5, -v118
	v_add_f32_e32 v1, v61, v1
	v_fmac_f32_e32 v63, 0xbe750f2a, v23
	v_add_f32_e32 v0, v14, v0
	v_fma_f32 v14, v35, s4, -v75
	v_add_f32_e32 v37, v115, v37
	v_add_f32_e32 v36, v39, v36
	;; [unrolled: 1-line block ×4, first 2 shown]
	ds_write2_b64 v58, v[4:5], v[28:29] offset0:169 offset1:170
	ds_write2_b64 v58, v[20:21], v[16:17] offset0:171 offset1:172
	;; [unrolled: 1-line block ×6, first 2 shown]
	ds_write_b64 v58, v[0:1] offset:1448
.LBB0_19:
	s_or_b64 exec, exec, s[2:3]
	v_mov_b32_e32 v1, s9
	v_add_co_u32_e64 v0, s[0:1], s8, v52
	v_addc_co_u32_e64 v1, s[0:1], v1, v53, s[0:1]
	s_waitcnt lgkmcnt(0)
	; wave barrier
	s_waitcnt lgkmcnt(0)
	v_add_u16_e32 v2, 26, v48
	s_movk_i32 s0, 0x4f
	global_load_dwordx2 v[24:25], v[0:1], off
	v_add_u16_e32 v0, 52, v48
	v_mul_lo_u16_sdwa v3, v2, s0 dst_sel:DWORD dst_unused:UNUSED_PAD src0_sel:BYTE_0 src1_sel:DWORD
	v_mul_lo_u16_sdwa v1, v0, s0 dst_sel:DWORD dst_unused:UNUSED_PAD src0_sel:BYTE_0 src1_sel:DWORD
	v_lshrrev_b16_e32 v3, 10, v3
	v_lshrrev_b16_e32 v1, 10, v1
	v_mul_lo_u16_e32 v3, 13, v3
	v_mul_lo_u16_e32 v1, 13, v1
	v_sub_u16_e32 v2, v2, v3
	v_mov_b32_e32 v3, 3
	v_sub_u16_e32 v0, v0, v1
	v_lshlrev_b32_sdwa v42, v3, v0 dst_sel:DWORD dst_unused:UNUSED_PAD src0_sel:DWORD src1_sel:BYTE_0
	v_add_u16_e32 v0, 0x41, v48
	v_mul_lo_u16_sdwa v1, v0, s0 dst_sel:DWORD dst_unused:UNUSED_PAD src0_sel:BYTE_0 src1_sel:DWORD
	v_lshrrev_b16_e32 v1, 10, v1
	v_mul_lo_u16_e32 v1, 13, v1
	v_lshlrev_b32_sdwa v40, v3, v2 dst_sel:DWORD dst_unused:UNUSED_PAD src0_sel:DWORD src1_sel:BYTE_0
	v_add_u16_e32 v2, 39, v48
	v_sub_u16_e32 v0, v0, v1
	v_mul_lo_u16_sdwa v4, v2, s0 dst_sel:DWORD dst_unused:UNUSED_PAD src0_sel:BYTE_0 src1_sel:DWORD
	v_lshlrev_b32_sdwa v43, v3, v0 dst_sel:DWORD dst_unused:UNUSED_PAD src0_sel:DWORD src1_sel:BYTE_0
	v_add_u16_e32 v0, 0x4e, v48
	v_lshrrev_b16_e32 v4, 10, v4
	v_mul_lo_u16_sdwa v1, v0, s0 dst_sel:DWORD dst_unused:UNUSED_PAD src0_sel:BYTE_0 src1_sel:DWORD
	v_mul_lo_u16_e32 v4, 13, v4
	v_lshrrev_b16_e32 v1, 10, v1
	v_sub_u16_e32 v2, v2, v4
	v_mul_lo_u16_e32 v1, 13, v1
	v_lshlrev_b32_sdwa v41, v3, v2 dst_sel:DWORD dst_unused:UNUSED_PAD src0_sel:DWORD src1_sel:BYTE_0
	global_load_dwordx2 v[26:27], v40, s[8:9]
	global_load_dwordx2 v[28:29], v41, s[8:9]
	;; [unrolled: 1-line block ×3, first 2 shown]
	v_sub_u16_e32 v0, v0, v1
	global_load_dwordx2 v[32:33], v43, s[8:9]
	v_lshlrev_b32_sdwa v44, v3, v0 dst_sel:DWORD dst_unused:UNUSED_PAD src0_sel:DWORD src1_sel:BYTE_0
	global_load_dwordx2 v[34:35], v44, s[8:9]
	ds_read2_b64 v[0:3], v49 offset0:91 offset1:104
	ds_read2_b64 v[4:7], v49 offset0:13 offset1:26
	;; [unrolled: 1-line block ×6, first 2 shown]
	ds_read_b64 v[36:37], v60
	ds_read_b64 v[38:39], v49 offset:1352
	s_waitcnt lgkmcnt(0)
	; wave barrier
	s_waitcnt lgkmcnt(0)
	s_mov_b32 s0, 0xbf5ff5aa
	s_mov_b32 s1, 0x3f3bfb3b
	;; [unrolled: 1-line block ×4, first 2 shown]
	s_waitcnt vmcnt(5)
	v_mul_f32_e32 v45, v25, v1
	v_mul_f32_e32 v46, v25, v0
	v_fmac_f32_e32 v45, v24, v0
	v_mul_f32_e32 v47, v25, v3
	v_mul_f32_e32 v25, v25, v2
	v_fma_f32 v1, v24, v1, -v46
	v_sub_f32_e32 v0, v36, v45
	v_fmac_f32_e32 v47, v24, v2
	v_fma_f32 v3, v24, v3, -v25
	v_sub_f32_e32 v1, v37, v1
	v_fma_f32 v24, v36, 2.0, -v0
	v_fma_f32 v25, v37, 2.0, -v1
	v_sub_f32_e32 v2, v4, v47
	v_sub_f32_e32 v3, v5, v3
	v_fma_f32 v4, v4, 2.0, -v2
	v_fma_f32 v5, v5, 2.0, -v3
	ds_write2_b64 v49, v[24:25], v[0:1] offset1:13
	ds_write2_b64 v49, v[4:5], v[2:3] offset0:26 offset1:39
	v_add3_u32 v0, 0, v40, v59
	s_waitcnt vmcnt(4)
	v_mul_f32_e32 v36, v27, v9
	v_mul_f32_e32 v27, v27, v8
	s_waitcnt vmcnt(3)
	v_mul_f32_e32 v37, v29, v11
	v_mul_f32_e32 v29, v29, v10
	v_fmac_f32_e32 v36, v26, v8
	v_fma_f32 v9, v26, v9, -v27
	s_waitcnt vmcnt(2)
	v_mul_f32_e32 v45, v17, v31
	v_mul_f32_e32 v31, v16, v31
	v_fmac_f32_e32 v37, v28, v10
	v_fma_f32 v11, v28, v11, -v29
	v_sub_f32_e32 v8, v6, v36
	v_sub_f32_e32 v9, v7, v9
	s_waitcnt vmcnt(1)
	v_mul_f32_e32 v46, v19, v33
	v_mul_f32_e32 v33, v18, v33
	v_fmac_f32_e32 v45, v16, v30
	v_fma_f32 v17, v17, v30, -v31
	v_fma_f32 v6, v6, 2.0, -v8
	v_fma_f32 v7, v7, 2.0, -v9
	v_sub_f32_e32 v10, v12, v37
	v_sub_f32_e32 v11, v13, v11
	s_waitcnt vmcnt(0)
	v_mul_f32_e32 v47, v39, v35
	v_mul_f32_e32 v35, v38, v35
	v_fmac_f32_e32 v46, v18, v32
	v_fma_f32 v19, v19, v32, -v33
	v_fma_f32 v12, v12, 2.0, -v10
	v_fma_f32 v13, v13, 2.0, -v11
	v_sub_f32_e32 v16, v14, v45
	v_sub_f32_e32 v17, v15, v17
	ds_write2_b64 v0, v[6:7], v[8:9] offset0:52 offset1:65
	v_add3_u32 v0, 0, v41, v59
	v_fmac_f32_e32 v47, v38, v34
	v_fma_f32 v27, v39, v34, -v35
	v_fma_f32 v14, v14, 2.0, -v16
	v_fma_f32 v15, v15, 2.0, -v17
	v_sub_f32_e32 v18, v20, v46
	v_sub_f32_e32 v19, v21, v19
	ds_write2_b64 v0, v[12:13], v[10:11] offset0:78 offset1:91
	v_add3_u32 v0, 0, v42, v59
	v_fma_f32 v20, v20, 2.0, -v18
	v_fma_f32 v21, v21, 2.0, -v19
	v_sub_f32_e32 v26, v22, v47
	v_sub_f32_e32 v27, v23, v27
	ds_write2_b64 v0, v[14:15], v[16:17] offset0:104 offset1:117
	v_add3_u32 v0, 0, v43, v59
	v_fma_f32 v22, v22, 2.0, -v26
	v_fma_f32 v23, v23, 2.0, -v27
	ds_write2_b64 v0, v[20:21], v[18:19] offset0:130 offset1:143
	v_add3_u32 v0, 0, v44, v59
	ds_write2_b64 v0, v[22:23], v[26:27] offset0:156 offset1:169
	v_mul_u32_u24_e32 v0, 6, v48
	v_lshlrev_b32_e32 v24, 3, v0
	s_waitcnt lgkmcnt(0)
	; wave barrier
	s_waitcnt lgkmcnt(0)
	global_load_dwordx4 v[0:3], v24, s[8:9] offset:104
	global_load_dwordx4 v[4:7], v24, s[8:9] offset:120
	;; [unrolled: 1-line block ×6, first 2 shown]
	ds_read2_b64 v[24:27], v49 offset0:13 offset1:26
	ds_read2_b64 v[28:31], v49 offset0:39 offset1:52
	;; [unrolled: 1-line block ×6, first 2 shown]
	ds_read_b64 v[52:53], v60
	ds_read_b64 v[54:55], v49 offset:1352
	s_waitcnt lgkmcnt(0)
	; wave barrier
	s_waitcnt vmcnt(5) lgkmcnt(0)
	v_mul_f32_e32 v56, v1, v27
	v_mul_f32_e32 v1, v1, v26
	;; [unrolled: 1-line block ×4, first 2 shown]
	s_waitcnt vmcnt(4)
	v_mul_f32_e32 v60, v7, v39
	v_mul_f32_e32 v7, v7, v38
	s_waitcnt vmcnt(2)
	v_mul_f32_e32 v64, v33, v15
	v_mul_f32_e32 v15, v32, v15
	v_fmac_f32_e32 v56, v0, v26
	v_fma_f32 v0, v0, v27, -v1
	v_fma_f32 v1, v2, v31, -v3
	v_fmac_f32_e32 v60, v6, v38
	v_fma_f32 v3, v6, v39, -v7
	v_fmac_f32_e32 v64, v32, v14
	v_fma_f32 v14, v33, v14, -v15
	s_waitcnt vmcnt(1)
	v_mul_f32_e32 v15, v37, v17
	v_mul_f32_e32 v6, v36, v17
	v_fmac_f32_e32 v15, v36, v16
	v_fma_f32 v16, v37, v16, -v6
	v_mul_f32_e32 v17, v41, v19
	v_mul_f32_e32 v6, v40, v19
	v_mul_f32_e32 v59, v5, v35
	v_mul_f32_e32 v5, v5, v34
	v_mul_f32_e32 v61, v9, v43
	v_mul_f32_e32 v62, v47, v11
	v_mul_f32_e32 v11, v46, v11
	v_fmac_f32_e32 v17, v40, v18
	v_fma_f32 v18, v41, v18, -v6
	s_waitcnt vmcnt(0)
	v_mul_f32_e32 v19, v45, v21
	v_mul_f32_e32 v6, v44, v21
	;; [unrolled: 1-line block ×3, first 2 shown]
	v_fmac_f32_e32 v57, v2, v30
	v_fma_f32 v2, v4, v35, -v5
	v_fmac_f32_e32 v61, v8, v42
	v_fmac_f32_e32 v62, v46, v10
	v_fma_f32 v5, v47, v10, -v11
	v_fmac_f32_e32 v19, v44, v20
	v_fma_f32 v20, v45, v20, -v6
	v_mul_f32_e32 v21, v55, v23
	v_mul_f32_e32 v6, v54, v23
	v_fmac_f32_e32 v59, v4, v34
	v_fma_f32 v4, v8, v43, -v9
	v_fmac_f32_e32 v21, v54, v22
	v_fma_f32 v22, v55, v22, -v6
	v_add_f32_e32 v6, v56, v62
	v_add_f32_e32 v7, v0, v5
	v_sub_f32_e32 v0, v0, v5
	v_add_f32_e32 v5, v57, v61
	v_mul_f32_e32 v63, v29, v13
	v_mul_f32_e32 v13, v28, v13
	v_add_f32_e32 v9, v1, v4
	v_sub_f32_e32 v1, v1, v4
	v_add_f32_e32 v4, v59, v60
	v_add_f32_e32 v11, v2, v3
	v_sub_f32_e32 v2, v3, v2
	v_add_f32_e32 v3, v5, v6
	v_fma_f32 v26, v29, v12, -v13
	v_add_f32_e32 v13, v9, v7
	v_add_f32_e32 v29, v2, v1
	;; [unrolled: 1-line block ×3, first 2 shown]
	v_fmac_f32_e32 v63, v28, v12
	v_sub_f32_e32 v10, v57, v61
	v_sub_f32_e32 v12, v60, v59
	v_sub_f32_e32 v23, v5, v6
	v_sub_f32_e32 v27, v9, v7
	v_sub_f32_e32 v6, v6, v4
	v_sub_f32_e32 v7, v7, v11
	v_sub_f32_e32 v5, v4, v5
	v_sub_f32_e32 v9, v11, v9
	v_sub_f32_e32 v31, v2, v1
	v_sub_f32_e32 v2, v0, v2
	v_sub_f32_e32 v32, v1, v0
	v_add_f32_e32 v4, v11, v13
	v_add_f32_e32 v11, v29, v0
	;; [unrolled: 1-line block ×3, first 2 shown]
	v_sub_f32_e32 v8, v56, v62
	v_add_f32_e32 v28, v12, v10
	v_sub_f32_e32 v30, v12, v10
	v_add_f32_e32 v1, v4, v53
	v_mov_b32_e32 v34, v0
	v_sub_f32_e32 v12, v8, v12
	v_sub_f32_e32 v10, v10, v8
	v_add_f32_e32 v8, v28, v8
	v_mul_f32_e32 v6, 0x3f4a47b2, v6
	v_mul_f32_e32 v7, 0x3f4a47b2, v7
	;; [unrolled: 1-line block ×7, first 2 shown]
	v_fmac_f32_e32 v34, 0xbf955555, v3
	v_mov_b32_e32 v3, v1
	v_mul_f32_e32 v31, 0xbf5ff5aa, v10
	v_fmac_f32_e32 v3, 0xbf955555, v4
	v_fma_f32 v4, v23, s1, -v13
	v_fma_f32 v13, v27, s1, -v28
	;; [unrolled: 1-line block ×3, first 2 shown]
	v_fmac_f32_e32 v6, 0x3d64c772, v5
	v_fma_f32 v5, v27, s2, -v7
	v_fmac_f32_e32 v7, 0x3d64c772, v9
	v_fma_f32 v9, v10, s0, -v29
	v_fma_f32 v10, v32, s0, -v30
	;; [unrolled: 1-line block ×3, first 2 shown]
	v_fmac_f32_e32 v29, 0xbeae86e6, v12
	v_fmac_f32_e32 v30, 0xbeae86e6, v2
	v_fma_f32 v12, v12, s3, -v31
	v_add_f32_e32 v32, v4, v34
	v_add_f32_e32 v23, v23, v34
	v_fmac_f32_e32 v10, 0xbee1c552, v11
	v_fmac_f32_e32 v27, 0xbee1c552, v11
	v_add_f32_e32 v28, v6, v34
	v_add_f32_e32 v33, v5, v3
	v_fmac_f32_e32 v29, 0xbee1c552, v8
	v_fmac_f32_e32 v30, 0xbee1c552, v11
	;; [unrolled: 1-line block ×4, first 2 shown]
	v_add_f32_e32 v4, v27, v23
	v_sub_f32_e32 v6, v32, v10
	v_add_f32_e32 v8, v10, v32
	v_sub_f32_e32 v10, v23, v27
	v_add_f32_e32 v23, v63, v21
	v_add_f32_e32 v27, v26, v22
	v_sub_f32_e32 v22, v26, v22
	v_add_f32_e32 v26, v64, v19
	v_add_f32_e32 v31, v7, v3
	;; [unrolled: 1-line block ×4, first 2 shown]
	v_sub_f32_e32 v5, v33, v12
	v_add_f32_e32 v11, v12, v33
	v_sub_f32_e32 v12, v28, v30
	v_add_f32_e32 v28, v14, v20
	;; [unrolled: 2-line block ×8, first 2 shown]
	v_add_f32_e32 v17, v20, v17
	v_sub_f32_e32 v21, v63, v21
	v_sub_f32_e32 v30, v26, v23
	;; [unrolled: 1-line block ×5, first 2 shown]
	v_add_f32_e32 v32, v15, v19
	v_add_f32_e32 v33, v16, v14
	v_sub_f32_e32 v34, v15, v19
	v_sub_f32_e32 v35, v16, v14
	;; [unrolled: 1-line block ×3, first 2 shown]
	v_add_f32_e32 v18, v29, v18
	v_add_f32_e32 v14, v17, v24
	v_sub_f32_e32 v26, v20, v26
	v_sub_f32_e32 v28, v29, v28
	;; [unrolled: 1-line block ×5, first 2 shown]
	v_add_f32_e32 v20, v32, v21
	v_add_f32_e32 v21, v33, v22
	;; [unrolled: 1-line block ×3, first 2 shown]
	v_mul_f32_e32 v22, 0x3f4a47b2, v23
	v_mul_f32_e32 v23, 0x3f4a47b2, v27
	;; [unrolled: 1-line block ×3, first 2 shown]
	v_mov_b32_e32 v34, v14
	v_mul_f32_e32 v24, 0x3d64c772, v26
	v_mul_f32_e32 v25, 0x3d64c772, v28
	;; [unrolled: 1-line block ×5, first 2 shown]
	v_fmac_f32_e32 v34, 0xbf955555, v17
	v_mov_b32_e32 v17, v15
	v_fmac_f32_e32 v17, 0xbf955555, v18
	v_fma_f32 v18, v30, s1, -v24
	v_fma_f32 v24, v31, s1, -v25
	;; [unrolled: 1-line block ×3, first 2 shown]
	v_fmac_f32_e32 v22, 0x3d64c772, v26
	v_fma_f32 v26, v31, s2, -v23
	v_fmac_f32_e32 v23, 0x3d64c772, v28
	v_fma_f32 v28, v19, s0, -v27
	;; [unrolled: 2-line block ×4, first 2 shown]
	v_fma_f32 v32, v16, s3, -v33
	v_add_f32_e32 v33, v22, v34
	v_add_f32_e32 v35, v23, v17
	;; [unrolled: 1-line block ×6, first 2 shown]
	v_fmac_f32_e32 v27, 0xbee1c552, v20
	v_fmac_f32_e32 v29, 0xbee1c552, v21
	;; [unrolled: 1-line block ×6, first 2 shown]
	v_add_f32_e32 v16, v29, v33
	v_sub_f32_e32 v17, v35, v27
	v_add_f32_e32 v18, v32, v24
	v_sub_f32_e32 v19, v25, v31
	v_sub_f32_e32 v20, v22, v30
	v_add_f32_e32 v21, v28, v23
	v_add_f32_e32 v22, v30, v22
	v_sub_f32_e32 v23, v23, v28
	v_sub_f32_e32 v24, v24, v32
	v_add_f32_e32 v25, v31, v25
	v_sub_f32_e32 v26, v33, v29
	v_add_f32_e32 v27, v27, v35
	ds_write2_b64 v49, v[0:1], v[14:15] offset1:13
	ds_write2_b64 v49, v[2:3], v[16:17] offset0:26 offset1:39
	ds_write2_b64 v49, v[4:5], v[18:19] offset0:52 offset1:65
	;; [unrolled: 1-line block ×6, first 2 shown]
	s_waitcnt lgkmcnt(0)
	; wave barrier
	s_waitcnt lgkmcnt(0)
	s_and_saveexec_b64 s[0:1], vcc
	s_cbranch_execz .LBB0_21
; %bb.20:
	v_lshl_add_u32 v6, v48, 3, v58
	v_mov_b32_e32 v49, 0
	ds_read2_b64 v[0:3], v6 offset1:13
	v_mov_b32_e32 v4, s13
	v_add_co_u32_e32 v7, vcc, s12, v50
	v_addc_co_u32_e32 v8, vcc, v4, v51, vcc
	v_lshlrev_b64 v[4:5], 3, v[48:49]
	v_add_co_u32_e32 v4, vcc, v7, v4
	v_addc_co_u32_e32 v5, vcc, v8, v5, vcc
	s_waitcnt lgkmcnt(0)
	global_store_dwordx2 v[4:5], v[0:1], off
	v_add_u32_e32 v0, 13, v48
	v_mov_b32_e32 v1, v49
	v_lshlrev_b64 v[0:1], 3, v[0:1]
	v_add_u32_e32 v4, 26, v48
	v_add_co_u32_e32 v0, vcc, v7, v0
	v_addc_co_u32_e32 v1, vcc, v8, v1, vcc
	global_store_dwordx2 v[0:1], v[2:3], off
	v_mov_b32_e32 v5, v49
	ds_read2_b64 v[0:3], v6 offset0:26 offset1:39
	v_lshlrev_b64 v[4:5], 3, v[4:5]
	v_add_co_u32_e32 v4, vcc, v7, v4
	v_addc_co_u32_e32 v5, vcc, v8, v5, vcc
	s_waitcnt lgkmcnt(0)
	global_store_dwordx2 v[4:5], v[0:1], off
	v_add_u32_e32 v0, 39, v48
	v_mov_b32_e32 v1, v49
	v_lshlrev_b64 v[0:1], 3, v[0:1]
	v_add_u32_e32 v4, 52, v48
	v_add_co_u32_e32 v0, vcc, v7, v0
	v_addc_co_u32_e32 v1, vcc, v8, v1, vcc
	global_store_dwordx2 v[0:1], v[2:3], off
	v_mov_b32_e32 v5, v49
	ds_read2_b64 v[0:3], v6 offset0:52 offset1:65
	;; [unrolled: 14-line block ×6, first 2 shown]
	v_lshlrev_b64 v[4:5], 3, v[4:5]
	v_add_u32_e32 v48, 0xa9, v48
	v_add_co_u32_e32 v4, vcc, v7, v4
	v_addc_co_u32_e32 v5, vcc, v8, v5, vcc
	s_waitcnt lgkmcnt(0)
	global_store_dwordx2 v[4:5], v[0:1], off
	v_lshlrev_b64 v[0:1], 3, v[48:49]
	v_add_co_u32_e32 v0, vcc, v7, v0
	v_addc_co_u32_e32 v1, vcc, v8, v1, vcc
	global_store_dwordx2 v[0:1], v[2:3], off
.LBB0_21:
	s_endpgm
	.section	.rodata,"a",@progbits
	.p2align	6, 0x0
	.amdhsa_kernel fft_rtc_back_len182_factors_13_2_7_wgs_52_tpt_13_sp_ip_CI_unitstride_sbrr_C2R_dirReg
		.amdhsa_group_segment_fixed_size 0
		.amdhsa_private_segment_fixed_size 0
		.amdhsa_kernarg_size 88
		.amdhsa_user_sgpr_count 6
		.amdhsa_user_sgpr_private_segment_buffer 1
		.amdhsa_user_sgpr_dispatch_ptr 0
		.amdhsa_user_sgpr_queue_ptr 0
		.amdhsa_user_sgpr_kernarg_segment_ptr 1
		.amdhsa_user_sgpr_dispatch_id 0
		.amdhsa_user_sgpr_flat_scratch_init 0
		.amdhsa_user_sgpr_private_segment_size 0
		.amdhsa_uses_dynamic_stack 0
		.amdhsa_system_sgpr_private_segment_wavefront_offset 0
		.amdhsa_system_sgpr_workgroup_id_x 1
		.amdhsa_system_sgpr_workgroup_id_y 0
		.amdhsa_system_sgpr_workgroup_id_z 0
		.amdhsa_system_sgpr_workgroup_info 0
		.amdhsa_system_vgpr_workitem_id 0
		.amdhsa_next_free_vgpr 127
		.amdhsa_next_free_sgpr 22
		.amdhsa_reserve_vcc 1
		.amdhsa_reserve_flat_scratch 0
		.amdhsa_float_round_mode_32 0
		.amdhsa_float_round_mode_16_64 0
		.amdhsa_float_denorm_mode_32 3
		.amdhsa_float_denorm_mode_16_64 3
		.amdhsa_dx10_clamp 1
		.amdhsa_ieee_mode 1
		.amdhsa_fp16_overflow 0
		.amdhsa_exception_fp_ieee_invalid_op 0
		.amdhsa_exception_fp_denorm_src 0
		.amdhsa_exception_fp_ieee_div_zero 0
		.amdhsa_exception_fp_ieee_overflow 0
		.amdhsa_exception_fp_ieee_underflow 0
		.amdhsa_exception_fp_ieee_inexact 0
		.amdhsa_exception_int_div_zero 0
	.end_amdhsa_kernel
	.text
.Lfunc_end0:
	.size	fft_rtc_back_len182_factors_13_2_7_wgs_52_tpt_13_sp_ip_CI_unitstride_sbrr_C2R_dirReg, .Lfunc_end0-fft_rtc_back_len182_factors_13_2_7_wgs_52_tpt_13_sp_ip_CI_unitstride_sbrr_C2R_dirReg
                                        ; -- End function
	.section	.AMDGPU.csdata,"",@progbits
; Kernel info:
; codeLenInByte = 11120
; NumSgprs: 26
; NumVgprs: 127
; ScratchSize: 0
; MemoryBound: 0
; FloatMode: 240
; IeeeMode: 1
; LDSByteSize: 0 bytes/workgroup (compile time only)
; SGPRBlocks: 3
; VGPRBlocks: 31
; NumSGPRsForWavesPerEU: 26
; NumVGPRsForWavesPerEU: 127
; Occupancy: 2
; WaveLimiterHint : 1
; COMPUTE_PGM_RSRC2:SCRATCH_EN: 0
; COMPUTE_PGM_RSRC2:USER_SGPR: 6
; COMPUTE_PGM_RSRC2:TRAP_HANDLER: 0
; COMPUTE_PGM_RSRC2:TGID_X_EN: 1
; COMPUTE_PGM_RSRC2:TGID_Y_EN: 0
; COMPUTE_PGM_RSRC2:TGID_Z_EN: 0
; COMPUTE_PGM_RSRC2:TIDIG_COMP_CNT: 0
	.type	__hip_cuid_37d917a3a8b15066,@object ; @__hip_cuid_37d917a3a8b15066
	.section	.bss,"aw",@nobits
	.globl	__hip_cuid_37d917a3a8b15066
__hip_cuid_37d917a3a8b15066:
	.byte	0                               ; 0x0
	.size	__hip_cuid_37d917a3a8b15066, 1

	.ident	"AMD clang version 19.0.0git (https://github.com/RadeonOpenCompute/llvm-project roc-6.4.0 25133 c7fe45cf4b819c5991fe208aaa96edf142730f1d)"
	.section	".note.GNU-stack","",@progbits
	.addrsig
	.addrsig_sym __hip_cuid_37d917a3a8b15066
	.amdgpu_metadata
---
amdhsa.kernels:
  - .args:
      - .actual_access:  read_only
        .address_space:  global
        .offset:         0
        .size:           8
        .value_kind:     global_buffer
      - .offset:         8
        .size:           8
        .value_kind:     by_value
      - .actual_access:  read_only
        .address_space:  global
        .offset:         16
        .size:           8
        .value_kind:     global_buffer
      - .actual_access:  read_only
        .address_space:  global
        .offset:         24
        .size:           8
        .value_kind:     global_buffer
      - .offset:         32
        .size:           8
        .value_kind:     by_value
      - .actual_access:  read_only
        .address_space:  global
        .offset:         40
        .size:           8
        .value_kind:     global_buffer
      - .actual_access:  read_only
        .address_space:  global
        .offset:         48
        .size:           8
        .value_kind:     global_buffer
      - .offset:         56
        .size:           4
        .value_kind:     by_value
      - .actual_access:  read_only
        .address_space:  global
        .offset:         64
        .size:           8
        .value_kind:     global_buffer
      - .actual_access:  read_only
        .address_space:  global
        .offset:         72
        .size:           8
        .value_kind:     global_buffer
      - .address_space:  global
        .offset:         80
        .size:           8
        .value_kind:     global_buffer
    .group_segment_fixed_size: 0
    .kernarg_segment_align: 8
    .kernarg_segment_size: 88
    .language:       OpenCL C
    .language_version:
      - 2
      - 0
    .max_flat_workgroup_size: 52
    .name:           fft_rtc_back_len182_factors_13_2_7_wgs_52_tpt_13_sp_ip_CI_unitstride_sbrr_C2R_dirReg
    .private_segment_fixed_size: 0
    .sgpr_count:     26
    .sgpr_spill_count: 0
    .symbol:         fft_rtc_back_len182_factors_13_2_7_wgs_52_tpt_13_sp_ip_CI_unitstride_sbrr_C2R_dirReg.kd
    .uniform_work_group_size: 1
    .uses_dynamic_stack: false
    .vgpr_count:     127
    .vgpr_spill_count: 0
    .wavefront_size: 64
amdhsa.target:   amdgcn-amd-amdhsa--gfx906
amdhsa.version:
  - 1
  - 2
...

	.end_amdgpu_metadata
